;; amdgpu-corpus repo=ROCm/rocFFT kind=compiled arch=gfx950 opt=O3
	.text
	.amdgcn_target "amdgcn-amd-amdhsa--gfx950"
	.amdhsa_code_object_version 6
	.protected	fft_rtc_back_len272_factors_16_17_wgs_119_tpt_17_halfLds_dp_op_CI_CI_sbrr_dirReg ; -- Begin function fft_rtc_back_len272_factors_16_17_wgs_119_tpt_17_halfLds_dp_op_CI_CI_sbrr_dirReg
	.globl	fft_rtc_back_len272_factors_16_17_wgs_119_tpt_17_halfLds_dp_op_CI_CI_sbrr_dirReg
	.p2align	8
	.type	fft_rtc_back_len272_factors_16_17_wgs_119_tpt_17_halfLds_dp_op_CI_CI_sbrr_dirReg,@function
fft_rtc_back_len272_factors_16_17_wgs_119_tpt_17_halfLds_dp_op_CI_CI_sbrr_dirReg: ; @fft_rtc_back_len272_factors_16_17_wgs_119_tpt_17_halfLds_dp_op_CI_CI_sbrr_dirReg
; %bb.0:
	s_load_dwordx4 s[12:15], s[0:1], 0x18
	s_load_dwordx4 s[8:11], s[0:1], 0x0
	;; [unrolled: 1-line block ×3, first 2 shown]
	v_mul_u32_u24_e32 v1, 0xf10, v0
	v_lshrrev_b32_e32 v2, 16, v1
	s_waitcnt lgkmcnt(0)
	s_load_dwordx2 s[18:19], s[12:13], 0x0
	s_load_dwordx2 s[16:17], s[14:15], 0x0
	v_mad_u64_u32 v[66:67], s[2:3], s2, 7, v[2:3]
	v_mov_b32_e32 v4, 0
	v_mov_b32_e32 v67, v4
	v_cmp_lt_u64_e64 s[2:3], s[10:11], 2
	v_mov_b64_e32 v[2:3], 0
	s_and_b64 vcc, exec, s[2:3]
	v_mov_b64_e32 v[104:105], v[2:3]
	v_mov_b64_e32 v[106:107], v[66:67]
	s_cbranch_vccnz .LBB0_8
; %bb.1:
	s_load_dwordx2 s[2:3], s[0:1], 0x10
	s_add_u32 s20, s14, 8
	s_addc_u32 s21, s15, 0
	s_add_u32 s22, s12, 8
	s_addc_u32 s23, s13, 0
	s_waitcnt lgkmcnt(0)
	s_add_u32 s24, s2, 8
	v_mov_b64_e32 v[2:3], 0
	s_addc_u32 s25, s3, 0
	s_mov_b64 s[26:27], 1
	v_mov_b64_e32 v[104:105], v[2:3]
	v_mov_b64_e32 v[6:7], v[66:67]
.LBB0_2:                                ; =>This Inner Loop Header: Depth=1
	s_load_dwordx2 s[28:29], s[24:25], 0x0
                                        ; implicit-def: $vgpr106_vgpr107
	s_waitcnt lgkmcnt(0)
	v_or_b32_e32 v5, s29, v7
	v_cmp_ne_u64_e32 vcc, 0, v[4:5]
	s_and_saveexec_b64 s[2:3], vcc
	s_xor_b64 s[30:31], exec, s[2:3]
	s_cbranch_execz .LBB0_4
; %bb.3:                                ;   in Loop: Header=BB0_2 Depth=1
	v_cvt_f32_u32_e32 v1, s28
	v_cvt_f32_u32_e32 v5, s29
	s_sub_u32 s2, 0, s28
	s_subb_u32 s3, 0, s29
	v_fmac_f32_e32 v1, 0x4f800000, v5
	v_rcp_f32_e32 v1, v1
	s_nop 0
	v_mul_f32_e32 v1, 0x5f7ffffc, v1
	v_mul_f32_e32 v5, 0x2f800000, v1
	v_trunc_f32_e32 v5, v5
	v_fmac_f32_e32 v1, 0xcf800000, v5
	v_cvt_u32_f32_e32 v5, v5
	v_cvt_u32_f32_e32 v1, v1
	v_mul_lo_u32 v8, s2, v5
	v_mul_hi_u32 v10, s2, v1
	v_mul_lo_u32 v9, s3, v1
	v_add_u32_e32 v10, v10, v8
	v_mul_lo_u32 v12, s2, v1
	v_add_u32_e32 v13, v10, v9
	v_mul_hi_u32 v8, v1, v12
	v_mul_hi_u32 v11, v1, v13
	v_mul_lo_u32 v10, v1, v13
	v_mov_b32_e32 v9, v4
	v_lshl_add_u64 v[8:9], v[8:9], 0, v[10:11]
	v_mul_hi_u32 v11, v5, v12
	v_mul_lo_u32 v12, v5, v12
	v_add_co_u32_e32 v8, vcc, v8, v12
	v_mul_hi_u32 v10, v5, v13
	s_nop 0
	v_addc_co_u32_e32 v8, vcc, v9, v11, vcc
	v_mov_b32_e32 v9, v4
	s_nop 0
	v_addc_co_u32_e32 v11, vcc, 0, v10, vcc
	v_mul_lo_u32 v10, v5, v13
	v_lshl_add_u64 v[8:9], v[8:9], 0, v[10:11]
	v_add_co_u32_e32 v1, vcc, v1, v8
	v_mul_lo_u32 v10, s2, v1
	s_nop 0
	v_addc_co_u32_e32 v5, vcc, v5, v9, vcc
	v_mul_lo_u32 v8, s2, v5
	v_mul_hi_u32 v9, s2, v1
	v_add_u32_e32 v8, v9, v8
	v_mul_lo_u32 v9, s3, v1
	v_add_u32_e32 v12, v8, v9
	v_mul_hi_u32 v14, v5, v10
	v_mul_lo_u32 v15, v5, v10
	v_mul_hi_u32 v9, v1, v12
	v_mul_lo_u32 v8, v1, v12
	v_mul_hi_u32 v10, v1, v10
	v_mov_b32_e32 v11, v4
	v_lshl_add_u64 v[8:9], v[10:11], 0, v[8:9]
	v_add_co_u32_e32 v8, vcc, v8, v15
	v_mul_hi_u32 v13, v5, v12
	s_nop 0
	v_addc_co_u32_e32 v8, vcc, v9, v14, vcc
	v_mul_lo_u32 v10, v5, v12
	s_nop 0
	v_addc_co_u32_e32 v11, vcc, 0, v13, vcc
	v_mov_b32_e32 v9, v4
	v_lshl_add_u64 v[8:9], v[8:9], 0, v[10:11]
	v_add_co_u32_e32 v1, vcc, v1, v8
	v_mul_hi_u32 v10, v6, v1
	s_nop 0
	v_addc_co_u32_e32 v5, vcc, v5, v9, vcc
	v_mad_u64_u32 v[8:9], s[2:3], v6, v5, 0
	v_mov_b32_e32 v11, v4
	v_lshl_add_u64 v[8:9], v[10:11], 0, v[8:9]
	v_mad_u64_u32 v[12:13], s[2:3], v7, v1, 0
	v_add_co_u32_e32 v1, vcc, v8, v12
	v_mad_u64_u32 v[10:11], s[2:3], v7, v5, 0
	s_nop 0
	v_addc_co_u32_e32 v8, vcc, v9, v13, vcc
	v_mov_b32_e32 v9, v4
	s_nop 0
	v_addc_co_u32_e32 v11, vcc, 0, v11, vcc
	v_lshl_add_u64 v[8:9], v[8:9], 0, v[10:11]
	v_mul_lo_u32 v1, s29, v8
	v_mul_lo_u32 v5, s28, v9
	v_mad_u64_u32 v[10:11], s[2:3], s28, v8, 0
	v_add3_u32 v1, v11, v5, v1
	v_sub_u32_e32 v5, v7, v1
	v_mov_b32_e32 v11, s29
	v_sub_co_u32_e32 v14, vcc, v6, v10
	v_lshl_add_u64 v[12:13], v[8:9], 0, 1
	s_nop 0
	v_subb_co_u32_e64 v5, s[2:3], v5, v11, vcc
	v_subrev_co_u32_e64 v10, s[2:3], s28, v14
	v_subb_co_u32_e32 v1, vcc, v7, v1, vcc
	s_nop 0
	v_subbrev_co_u32_e64 v5, s[2:3], 0, v5, s[2:3]
	v_cmp_le_u32_e64 s[2:3], s29, v5
	v_cmp_le_u32_e32 vcc, s29, v1
	s_nop 0
	v_cndmask_b32_e64 v11, 0, -1, s[2:3]
	v_cmp_le_u32_e64 s[2:3], s28, v10
	s_nop 1
	v_cndmask_b32_e64 v10, 0, -1, s[2:3]
	v_cmp_eq_u32_e64 s[2:3], s29, v5
	s_nop 1
	v_cndmask_b32_e64 v5, v11, v10, s[2:3]
	v_lshl_add_u64 v[10:11], v[8:9], 0, 2
	v_cmp_ne_u32_e64 s[2:3], 0, v5
	s_nop 1
	v_cndmask_b32_e64 v5, v13, v11, s[2:3]
	v_cndmask_b32_e64 v11, 0, -1, vcc
	v_cmp_le_u32_e32 vcc, s28, v14
	s_nop 1
	v_cndmask_b32_e64 v13, 0, -1, vcc
	v_cmp_eq_u32_e32 vcc, s29, v1
	s_nop 1
	v_cndmask_b32_e32 v1, v11, v13, vcc
	v_cmp_ne_u32_e32 vcc, 0, v1
	v_cndmask_b32_e64 v1, v12, v10, s[2:3]
	s_nop 0
	v_cndmask_b32_e32 v107, v9, v5, vcc
	v_cndmask_b32_e32 v106, v8, v1, vcc
.LBB0_4:                                ;   in Loop: Header=BB0_2 Depth=1
	s_andn2_saveexec_b64 s[2:3], s[30:31]
	s_cbranch_execz .LBB0_6
; %bb.5:                                ;   in Loop: Header=BB0_2 Depth=1
	v_cvt_f32_u32_e32 v1, s28
	s_sub_i32 s30, 0, s28
	v_mov_b32_e32 v107, v4
	v_rcp_iflag_f32_e32 v1, v1
	s_nop 0
	v_mul_f32_e32 v1, 0x4f7ffffe, v1
	v_cvt_u32_f32_e32 v1, v1
	v_mul_lo_u32 v5, s30, v1
	v_mul_hi_u32 v5, v1, v5
	v_add_u32_e32 v1, v1, v5
	v_mul_hi_u32 v1, v6, v1
	v_mul_lo_u32 v5, v1, s28
	v_sub_u32_e32 v5, v6, v5
	v_add_u32_e32 v8, 1, v1
	v_subrev_u32_e32 v9, s28, v5
	v_cmp_le_u32_e32 vcc, s28, v5
	s_nop 1
	v_cndmask_b32_e32 v5, v5, v9, vcc
	v_cndmask_b32_e32 v1, v1, v8, vcc
	v_add_u32_e32 v8, 1, v1
	v_cmp_le_u32_e32 vcc, s28, v5
	s_nop 1
	v_cndmask_b32_e32 v106, v1, v8, vcc
.LBB0_6:                                ;   in Loop: Header=BB0_2 Depth=1
	s_or_b64 exec, exec, s[2:3]
	v_mad_u64_u32 v[8:9], s[2:3], v106, s28, 0
	s_load_dwordx2 s[2:3], s[22:23], 0x0
	v_mul_lo_u32 v1, v107, s28
	v_mul_lo_u32 v5, v106, s29
	s_load_dwordx2 s[28:29], s[20:21], 0x0
	s_add_u32 s26, s26, 1
	v_add3_u32 v1, v9, v5, v1
	v_sub_co_u32_e32 v5, vcc, v6, v8
	s_addc_u32 s27, s27, 0
	s_nop 0
	v_subb_co_u32_e32 v1, vcc, v7, v1, vcc
	s_add_u32 s20, s20, 8
	s_waitcnt lgkmcnt(0)
	v_mul_lo_u32 v6, s2, v1
	v_mul_lo_u32 v7, s3, v5
	v_mad_u64_u32 v[2:3], s[2:3], s2, v5, v[2:3]
	s_addc_u32 s21, s21, 0
	v_add3_u32 v3, v7, v3, v6
	v_mul_lo_u32 v1, s28, v1
	v_mul_lo_u32 v6, s29, v5
	v_mad_u64_u32 v[104:105], s[2:3], s28, v5, v[104:105]
	s_add_u32 s22, s22, 8
	v_add3_u32 v105, v6, v105, v1
	s_addc_u32 s23, s23, 0
	v_mov_b64_e32 v[6:7], s[10:11]
	s_add_u32 s24, s24, 8
	v_cmp_ge_u64_e32 vcc, s[26:27], v[6:7]
	s_addc_u32 s25, s25, 0
	s_cbranch_vccnz .LBB0_8
; %bb.7:                                ;   in Loop: Header=BB0_2 Depth=1
	v_mov_b64_e32 v[6:7], v[106:107]
	s_branch .LBB0_2
.LBB0_8:
	s_load_dwordx2 s[0:1], s[0:1], 0x28
	s_lshl_b64 s[10:11], s[10:11], 3
	s_add_u32 s2, s14, s10
	s_addc_u32 s3, s15, s11
                                        ; implicit-def: $vgpr188
	s_waitcnt lgkmcnt(0)
	v_cmp_gt_u64_e32 vcc, s[0:1], v[106:107]
	v_cmp_le_u64_e64 s[0:1], s[0:1], v[106:107]
	s_and_saveexec_b64 s[14:15], s[0:1]
	s_xor_b64 s[0:1], exec, s[14:15]
; %bb.9:
	s_mov_b32 s14, 0xf0f0f10
	v_mul_hi_u32 v1, v0, s14
	v_mul_u32_u24_e32 v1, 17, v1
	v_sub_u32_e32 v188, v0, v1
                                        ; implicit-def: $vgpr0
                                        ; implicit-def: $vgpr2_vgpr3
; %bb.10:
	s_or_saveexec_b64 s[0:1], s[0:1]
                                        ; implicit-def: $vgpr8_vgpr9
                                        ; implicit-def: $vgpr16_vgpr17
                                        ; implicit-def: $vgpr12_vgpr13
                                        ; implicit-def: $vgpr40_vgpr41
                                        ; implicit-def: $vgpr20_vgpr21
                                        ; implicit-def: $vgpr24_vgpr25
                                        ; implicit-def: $vgpr44_vgpr45
                                        ; implicit-def: $vgpr56_vgpr57
                                        ; implicit-def: $vgpr36_vgpr37
                                        ; implicit-def: $vgpr64_vgpr65
                                        ; implicit-def: $vgpr52_vgpr53
                                        ; implicit-def: $vgpr60_vgpr61
                                        ; implicit-def: $vgpr48_vgpr49
                                        ; implicit-def: $vgpr32_vgpr33
                                        ; implicit-def: $vgpr28_vgpr29
                                        ; implicit-def: $vgpr4_vgpr5
	s_xor_b64 exec, exec, s[0:1]
	s_cbranch_execz .LBB0_12
; %bb.11:
	s_add_u32 s10, s12, s10
	s_addc_u32 s11, s13, s11
	s_load_dwordx2 s[10:11], s[10:11], 0x0
	s_mov_b32 s12, 0xf0f0f10
	s_waitcnt lgkmcnt(0)
	v_mul_lo_u32 v1, s11, v106
	v_mul_lo_u32 v6, s10, v107
	v_mad_u64_u32 v[4:5], s[10:11], s10, v106, 0
	v_add3_u32 v5, v5, v6, v1
	v_mul_hi_u32 v1, v0, s12
	v_mul_u32_u24_e32 v1, 17, v1
	v_sub_u32_e32 v188, v0, v1
	v_mad_u64_u32 v[6:7], s[10:11], s18, v188, 0
	v_mov_b32_e32 v0, v7
	v_mad_u64_u32 v[0:1], s[10:11], s19, v188, v[0:1]
	v_mov_b32_e32 v7, v0
	v_lshl_add_u64 v[0:1], v[4:5], 4, s[4:5]
	v_add_u32_e32 v5, 17, v188
	v_lshl_add_u64 v[0:1], v[2:3], 4, v[0:1]
	v_mad_u64_u32 v[2:3], s[4:5], s18, v5, 0
	v_mov_b32_e32 v4, v3
	v_mad_u64_u32 v[4:5], s[4:5], s19, v5, v[4:5]
	v_mov_b32_e32 v3, v4
	v_lshl_add_u64 v[10:11], v[6:7], 4, v[0:1]
	v_lshl_add_u64 v[12:13], v[2:3], 4, v[0:1]
	global_load_dwordx4 v[2:5], v[10:11], off
	global_load_dwordx4 v[6:9], v[12:13], off
	v_add_u32_e32 v13, 34, v188
	v_mad_u64_u32 v[10:11], s[4:5], s18, v13, 0
	v_mov_b32_e32 v12, v11
	v_mad_u64_u32 v[12:13], s[4:5], s19, v13, v[12:13]
	v_mov_b32_e32 v11, v12
	v_add_u32_e32 v13, 51, v188
	v_lshl_add_u64 v[18:19], v[10:11], 4, v[0:1]
	v_mad_u64_u32 v[10:11], s[4:5], s18, v13, 0
	v_mov_b32_e32 v12, v11
	v_mad_u64_u32 v[12:13], s[4:5], s19, v13, v[12:13]
	v_mov_b32_e32 v11, v12
	v_lshl_add_u64 v[20:21], v[10:11], 4, v[0:1]
	global_load_dwordx4 v[14:17], v[18:19], off
	global_load_dwordx4 v[10:13], v[20:21], off
	v_add_u32_e32 v21, 0x44, v188
	v_mad_u64_u32 v[18:19], s[4:5], s18, v21, 0
	v_mov_b32_e32 v20, v19
	v_mad_u64_u32 v[20:21], s[4:5], s19, v21, v[20:21]
	v_mov_b32_e32 v19, v20
	v_add_u32_e32 v21, 0x55, v188
	v_lshl_add_u64 v[22:23], v[18:19], 4, v[0:1]
	v_mad_u64_u32 v[18:19], s[4:5], s18, v21, 0
	v_mov_b32_e32 v20, v19
	v_mad_u64_u32 v[20:21], s[4:5], s19, v21, v[20:21]
	v_mov_b32_e32 v19, v20
	;; [unrolled: 14-line block ×5, first 2 shown]
	v_add_u32_e32 v37, 0xcc, v188
	v_lshl_add_u64 v[70:71], v[34:35], 4, v[0:1]
	v_mad_u64_u32 v[34:35], s[4:5], s18, v37, 0
	v_mov_b32_e32 v36, v35
	v_mad_u64_u32 v[36:37], s[4:5], s19, v37, v[36:37]
	v_mov_b32_e32 v35, v36
	v_add_u32_e32 v37, 0xdd, v188
	v_lshl_add_u64 v[72:73], v[34:35], 4, v[0:1]
	v_mad_u64_u32 v[34:35], s[4:5], s18, v37, 0
	v_mov_b32_e32 v36, v35
	v_mad_u64_u32 v[36:37], s[4:5], s19, v37, v[36:37]
	v_mov_b32_e32 v35, v36
	;; [unrolled: 6-line block ×4, first 2 shown]
	v_lshl_add_u64 v[0:1], v[34:35], 4, v[0:1]
	global_load_dwordx4 v[54:57], v[68:69], off
	global_load_dwordx4 v[34:37], v[70:71], off
	;; [unrolled: 1-line block ×6, first 2 shown]
.LBB0_12:
	s_or_b64 exec, exec, s[0:1]
	s_mov_b32 s0, 0x24924925
	v_mul_hi_u32 v0, v66, s0
	v_sub_u32_e32 v1, v66, v0
	v_lshrrev_b32_e32 v1, 1, v1
	v_add_u32_e32 v0, v1, v0
	s_waitcnt vmcnt(6)
	v_add_f64 v[30:31], v[6:7], -v[30:31]
	s_waitcnt vmcnt(4)
	v_add_f64 v[36:37], v[12:13], -v[36:37]
	v_lshrrev_b32_e32 v0, 2, v0
	v_add_f64 v[32:33], v[8:9], -v[32:33]
	v_fma_f64 v[70:71], v[6:7], 2.0, -v[30:31]
	s_waitcnt vmcnt(2)
	v_add_f64 v[6:7], v[18:19], -v[50:51]
	v_add_f64 v[50:51], v[20:21], -v[52:53]
	;; [unrolled: 1-line block ×3, first 2 shown]
	v_fma_f64 v[72:73], v[12:13], 2.0, -v[36:37]
	s_waitcnt vmcnt(0)
	v_add_f64 v[12:13], v[22:23], -v[46:47]
	v_add_f64 v[46:47], v[24:25], -v[48:49]
	s_mov_b32 s0, 0x667f3bcd
	v_mul_lo_u32 v0, v0, 7
	v_add_f64 v[68:69], v[16:17], -v[56:57]
	v_fma_f64 v[18:19], v[18:19], 2.0, -v[6:7]
	v_fma_f64 v[22:23], v[22:23], 2.0, -v[12:13]
	v_add_f64 v[74:75], v[50:51], v[30:31]
	v_add_f64 v[76:77], v[32:33], -v[6:7]
	v_add_f64 v[6:7], v[34:35], v[46:47]
	v_add_f64 v[12:13], v[36:37], -v[12:13]
	s_mov_b32 s1, 0x3fe6a09e
	v_sub_u32_e32 v88, v66, v0
	v_add_f64 v[0:1], v[14:15], -v[54:55]
	v_fma_f64 v[54:55], v[16:17], 2.0, -v[68:69]
	v_add_f64 v[16:17], v[26:27], -v[58:59]
	v_add_f64 v[60:61], v[28:29], -v[60:61]
	v_fma_f64 v[10:11], v[10:11], 2.0, -v[34:35]
	v_fma_f64 v[30:31], v[30:31], 2.0, -v[74:75]
	;; [unrolled: 1-line block ×3, first 2 shown]
	s_mov_b32 s13, 0xbfe6a09e
	s_mov_b32 s12, s0
	v_fma_f64 v[58:59], s[0:1], v[12:13], v[76:77]
	v_add_f64 v[62:63], v[38:39], -v[62:63]
	v_add_f64 v[64:65], v[40:41], -v[64:65]
	v_fma_f64 v[26:27], v[26:27], 2.0, -v[16:17]
	v_fma_f64 v[8:9], v[8:9], 2.0, -v[32:33]
	;; [unrolled: 1-line block ×5, first 2 shown]
	v_fma_f64 v[46:47], s[12:13], v[34:35], v[30:31]
	v_fma_f64 v[56:57], s[0:1], v[6:7], v[74:75]
	v_fmac_f64_e32 v[58:59], s[12:13], v[6:7]
	v_add_f64 v[6:7], v[2:3], -v[42:43]
	v_add_f64 v[78:79], v[0:1], v[60:61]
	v_add_f64 v[80:81], v[68:69], -v[16:17]
	v_add_f64 v[16:17], v[70:71], -v[18:19]
	;; [unrolled: 1-line block ×3, first 2 shown]
	v_fma_f64 v[14:15], v[14:15], 2.0, -v[0:1]
	v_fma_f64 v[20:21], v[20:21], 2.0, -v[50:51]
	v_fmac_f64_e32 v[46:47], s[0:1], v[36:37]
	v_fma_f64 v[66:67], s[12:13], v[36:37], v[32:33]
	v_fmac_f64_e32 v[56:57], s[0:1], v[12:13]
	v_fma_f64 v[2:3], v[2:3], 2.0, -v[6:7]
	v_fma_f64 v[12:13], v[38:39], 2.0, -v[62:63]
	v_add_f64 v[36:37], v[64:65], v[6:7]
	v_fma_f64 v[82:83], v[0:1], 2.0, -v[78:79]
	v_fma_f64 v[0:1], v[70:71], 2.0, -v[16:17]
	;; [unrolled: 1-line block ×4, first 2 shown]
	v_fmac_f64_e32 v[66:67], s[12:13], v[34:35]
	v_add_f64 v[34:35], v[2:3], -v[12:13]
	v_fma_f64 v[12:13], v[6:7], 2.0, -v[36:37]
	v_add_f64 v[60:61], v[0:1], -v[10:11]
	v_add_f64 v[10:11], v[8:9], -v[20:21]
	;; [unrolled: 1-line block ×3, first 2 shown]
	v_fma_f64 v[84:85], v[68:69], 2.0, -v[80:81]
	v_fma_f64 v[86:87], s[12:13], v[82:83], v[12:13]
	v_add_f64 v[52:53], v[54:55], -v[28:29]
	v_fma_f64 v[48:49], v[8:9], 2.0, -v[10:11]
	v_add_f64 v[8:9], v[72:73], -v[24:25]
	v_fma_f64 v[2:3], v[2:3], 2.0, -v[34:35]
	v_fma_f64 v[14:15], v[14:15], 2.0, -v[6:7]
	v_fmac_f64_e32 v[86:87], s[0:1], v[84:85]
	v_fma_f64 v[50:51], v[32:33], 2.0, -v[66:67]
	s_mov_b32 s4, 0xcf328d46
	v_fma_f64 v[24:25], v[72:73], 2.0, -v[8:9]
	v_add_f64 v[32:33], v[52:53], v[34:35]
	v_add_f64 v[72:73], v[8:9], v[16:17]
	v_add_f64 v[38:39], v[2:3], -v[14:15]
	v_fma_f64 v[22:23], v[12:13], 2.0, -v[86:87]
	v_fma_f64 v[42:43], v[30:31], 2.0, -v[46:47]
	s_mov_b32 s5, 0xbfed906b
	s_mov_b32 s10, 0xa6aea964
	v_fma_f64 v[26:27], v[34:35], 2.0, -v[32:33]
	v_fma_f64 v[34:35], s[0:1], v[78:79], v[36:37]
	v_add_f64 v[90:91], v[10:11], -v[18:19]
	v_fma_f64 v[92:93], v[16:17], 2.0, -v[72:73]
	v_fma_f64 v[2:3], v[2:3], 2.0, -v[38:39]
	;; [unrolled: 1-line block ×3, first 2 shown]
	v_fma_f64 v[14:15], s[4:5], v[42:43], v[22:23]
	s_mov_b32 s11, 0x3fd87de2
	v_fmac_f64_e32 v[34:35], s[0:1], v[80:81]
	v_fma_f64 v[94:95], v[10:11], 2.0, -v[90:91]
	v_fma_f64 v[20:21], s[12:13], v[92:93], v[26:27]
	s_load_dwordx2 s[2:3], s[2:3], 0x0
	v_add_f64 v[12:13], v[2:3], -v[0:1]
	v_fmac_f64_e32 v[14:15], s[10:11], v[50:51]
	v_fma_f64 v[28:29], v[36:37], 2.0, -v[34:35]
	v_fma_f64 v[68:69], v[74:75], 2.0, -v[56:57]
	v_fmac_f64_e32 v[20:21], s[0:1], v[94:95]
	s_mov_b32 s13, 0xbfd87de2
	s_mov_b32 s12, s10
	;; [unrolled: 1-line block ×4, first 2 shown]
	v_fma_f64 v[16:17], s[0:1], v[72:73], v[32:33]
	v_fma_f64 v[0:1], v[2:3], 2.0, -v[12:13]
	v_fma_f64 v[2:3], v[22:23], 2.0, -v[14:15]
	;; [unrolled: 1-line block ×3, first 2 shown]
	v_fma_f64 v[22:23], s[12:13], v[68:69], v[28:29]
	v_fma_f64 v[8:9], v[26:27], 2.0, -v[20:21]
	v_add_f64 v[74:75], v[48:49], -v[24:25]
	v_fma_f64 v[26:27], s[10:11], v[46:47], v[86:87]
	v_fmac_f64_e32 v[16:17], s[0:1], v[90:91]
	v_fma_f64 v[18:19], s[14:15], v[56:57], v[34:35]
	v_fmac_f64_e32 v[22:23], s[14:15], v[70:71]
	v_add_f64 v[24:25], v[74:75], v[38:39]
	v_fmac_f64_e32 v[26:27], s[14:15], v[66:67]
	v_fmac_f64_e32 v[18:19], s[10:11], v[58:59]
	v_fma_f64 v[36:37], v[32:33], 2.0, -v[16:17]
	v_mul_u32_u24_e32 v33, 0x110, v88
	v_lshl_add_u32 v32, v188, 7, 0
	v_fma_f64 v[10:11], v[28:29], 2.0, -v[22:23]
	v_fma_f64 v[28:29], v[38:39], 2.0, -v[24:25]
	;; [unrolled: 1-line block ×4, first 2 shown]
	v_mul_f64 v[86:87], v[82:83], s[0:1]
	v_mul_f64 v[88:89], v[84:85], s[0:1]
	;; [unrolled: 1-line block ×8, first 2 shown]
	v_lshl_add_u32 v90, v33, 3, v32
	v_cmp_gt_u32_e64 s[0:1], 16, v188
	v_lshlrev_b32_e32 v91, 3, v33
	v_lshlrev_b32_e32 v92, 3, v188
	ds_write_b128 v90, v[0:3]
	ds_write_b128 v90, v[8:11] offset:16
	ds_write_b128 v90, v[28:31] offset:32
	;; [unrolled: 1-line block ×7, first 2 shown]
	s_waitcnt lgkmcnt(0)
	s_barrier
	s_waitcnt lgkmcnt(0)
                                        ; implicit-def: $vgpr34_vgpr35
	s_and_saveexec_b64 s[18:19], s[0:1]
	s_cbranch_execz .LBB0_14
; %bb.13:
	v_mul_i32_i24_e32 v2, 0xffffff88, v188
	v_add3_u32 v0, 0, v91, v92
	v_add3_u32 v2, v32, v2, v91
	ds_read_b64 v[0:1], v0
	ds_read2_b64 v[8:11], v2 offset0:16 offset1:32
	ds_read2_b64 v[12:15], v2 offset0:48 offset1:64
	;; [unrolled: 1-line block ×7, first 2 shown]
	v_add_u32_e32 v2, 0x400, v2
	ds_read2_b64 v[32:35], v2 offset0:112 offset1:128
	s_waitcnt lgkmcnt(7)
	v_mov_b64_e32 v[2:3], v[8:9]
	v_mov_b64_e32 v[8:9], v[10:11]
	s_waitcnt lgkmcnt(6)
	v_mov_b64_e32 v[10:11], v[12:13]
	v_mov_b64_e32 v[28:29], v[14:15]
	s_waitcnt lgkmcnt(5)
	v_mov_b64_e32 v[30:31], v[94:95]
	s_waitcnt lgkmcnt(4)
	v_mov_b64_e32 v[38:39], v[16:17]
	v_mov_b64_e32 v[12:13], v[18:19]
	s_waitcnt lgkmcnt(3)
	;; [unrolled: 5-line block ×3, first 2 shown]
	v_mov_b64_e32 v[18:19], v[32:33]
	v_mov_b64_e32 v[14:15], v[98:99]
	;; [unrolled: 1-line block ×3, first 2 shown]
.LBB0_14:
	s_or_b64 exec, exec, s[18:19]
	v_add_f64 v[32:33], v[4:5], -v[44:45]
	v_fma_f64 v[4:5], v[4:5], 2.0, -v[32:33]
	v_fma_f64 v[40:41], v[40:41], 2.0, -v[64:65]
	v_add_f64 v[40:41], v[4:5], -v[40:41]
	v_add_f64 v[44:45], v[32:33], -v[62:63]
	v_fma_f64 v[4:5], v[4:5], 2.0, -v[40:41]
	v_fma_f64 v[32:33], v[32:33], 2.0, -v[44:45]
	;; [unrolled: 1-line block ×3, first 2 shown]
	v_add_f64 v[62:63], v[4:5], -v[52:53]
	v_add_f64 v[52:53], v[32:33], -v[88:89]
	;; [unrolled: 1-line block ×3, first 2 shown]
	v_fma_f64 v[32:33], v[32:33], 2.0, -v[86:87]
	v_add_f64 v[88:89], v[40:41], -v[6:7]
	v_add_f64 v[6:7], v[44:45], v[84:85]
	v_add_f64 v[82:83], v[6:7], -v[82:83]
	v_fma_f64 v[50:51], s[4:5], v[50:51], v[32:33]
	v_fma_f64 v[4:5], v[4:5], 2.0, -v[62:63]
	v_fma_f64 v[40:41], v[40:41], 2.0, -v[88:89]
	;; [unrolled: 1-line block ×4, first 2 shown]
	v_fmac_f64_e32 v[50:51], s[12:13], v[42:43]
	v_add_f64 v[60:61], v[62:63], -v[60:61]
	v_add_f64 v[48:49], v[4:5], -v[6:7]
	v_fma_f64 v[6:7], v[32:33], 2.0, -v[50:51]
	v_add_f64 v[32:33], v[40:41], -v[80:81]
	v_fma_f64 v[54:55], s[12:13], v[70:71], v[44:45]
	v_fma_f64 v[64:65], v[62:63], 2.0, -v[60:61]
	v_fma_f64 v[62:63], s[10:11], v[66:67], v[86:87]
	v_add_f64 v[52:53], v[32:33], -v[78:79]
	v_fmac_f64_e32 v[54:55], s[4:5], v[68:69]
	v_fmac_f64_e32 v[62:63], s[4:5], v[46:47]
	v_add_f64 v[32:33], v[76:77], v[88:89]
	v_fma_f64 v[46:47], s[14:15], v[58:59], v[82:83]
	v_fma_f64 v[42:43], v[44:45], 2.0, -v[54:55]
	v_add_f64 v[44:45], v[32:33], -v[72:73]
	v_fmac_f64_e32 v[46:47], s[12:13], v[56:57]
	v_fma_f64 v[4:5], v[4:5], 2.0, -v[48:49]
	v_fma_f64 v[40:41], v[40:41], 2.0, -v[52:53]
	;; [unrolled: 1-line block ×5, first 2 shown]
	s_barrier
	ds_write_b128 v90, v[4:7]
	ds_write_b128 v90, v[40:43] offset:16
	ds_write_b128 v90, v[64:67] offset:32
	;; [unrolled: 1-line block ×7, first 2 shown]
	s_waitcnt lgkmcnt(0)
	s_barrier
	s_waitcnt lgkmcnt(0)
                                        ; implicit-def: $vgpr58_vgpr59
	s_and_saveexec_b64 s[4:5], s[0:1]
	s_cbranch_execz .LBB0_16
; %bb.15:
	v_add3_u32 v4, 0, v91, v92
	v_add3_u32 v6, 0, v92, v91
	ds_read_b64 v[4:5], v4
	ds_read2_b64 v[72:75], v6 offset0:16 offset1:32
	ds_read2_b64 v[40:43], v6 offset0:48 offset1:64
	ds_read2_b64 v[64:67], v6 offset0:80 offset1:96
	ds_read2_b64 v[44:47], v6 offset0:112 offset1:128
	ds_read2_b64 v[50:53], v6 offset0:144 offset1:160
	ds_read2_b64 v[60:63], v6 offset0:176 offset1:192
	ds_read2_b64 v[76:79], v6 offset0:208 offset1:224
	v_add_u32_e32 v6, 0x400, v6
	ds_read2_b64 v[56:59], v6 offset0:112 offset1:128
	s_waitcnt lgkmcnt(4)
	v_mov_b64_e32 v[70:71], v[44:45]
	v_mov_b64_e32 v[48:49], v[46:47]
	s_waitcnt lgkmcnt(2)
	v_mov_b64_e32 v[54:55], v[60:61]
	v_mov_b64_e32 v[60:61], v[62:63]
	;; [unrolled: 3-line block ×4, first 2 shown]
	v_mov_b64_e32 v[66:67], v[64:65]
	v_mov_b64_e32 v[64:65], v[42:43]
	;; [unrolled: 1-line block ×5, first 2 shown]
.LBB0_16:
	s_or_b64 exec, exec, s[4:5]
	v_cmp_gt_u32_e64 s[0:1], 16, v188
	s_and_b64 s[0:1], vcc, s[0:1]
	s_and_saveexec_b64 s[4:5], s[0:1]
	s_cbranch_execz .LBB0_18
; %bb.17:
	v_lshlrev_b32_e32 v32, 4, v188
	v_and_b32_e32 v32, 0xf0, v32
	v_lshlrev_b32_e32 v32, 4, v32
	global_load_dwordx4 v[72:75], v32, s[8:9] offset:112
	global_load_dwordx4 v[100:103], v32, s[8:9] offset:128
	;; [unrolled: 1-line block ×15, first 2 shown]
	global_load_dwordx4 v[162:165], v32, s[8:9]
	s_mov_b32 s28, 0xacd6c6b4
	s_mov_b32 s34, 0x5d8e7cdc
	;; [unrolled: 1-line block ×46, first 2 shown]
	v_mul_lo_u32 v107, s2, v107
	s_waitcnt vmcnt(15)
	v_mul_f64 v[108:109], v[48:49], v[74:75]
	v_mul_f64 v[32:33], v[12:13], v[74:75]
	s_waitcnt vmcnt(14)
	v_mul_f64 v[74:75], v[50:51], v[102:103]
	v_mul_f64 v[56:57], v[14:15], v[102:103]
	;; [unrolled: 3-line block ×5, first 2 shown]
	v_fmac_f64_e32 v[98:99], v[36:37], v[92:93]
	v_fma_f64 v[92:93], v[68:69], v[92:93], -v[128:129]
	v_fmac_f64_e32 v[94:95], v[20:21], v[88:89]
	v_fma_f64 v[68:69], v[52:53], v[88:89], -v[134:135]
	s_waitcnt vmcnt(4)
	v_mul_f64 v[88:89], v[40:41], v[132:133]
	v_mul_f64 v[90:91], v[54:55], v[86:87]
	;; [unrolled: 1-line block ×7, first 2 shown]
	v_fmac_f64_e32 v[88:89], v[8:9], v[130:131]
	v_mul_f64 v[8:9], v[8:9], v[132:133]
	v_mul_f64 v[110:111], v[66:67], v[82:83]
	v_mul_f64 v[142:143], v[30:31], v[82:83]
	v_mul_f64 v[82:83], v[64:65], v[116:117]
	v_mul_f64 v[116:117], v[28:29], v[116:117]
	v_fma_f64 v[62:63], v[62:63], v[118:119], -v[120:121]
	v_fma_f64 v[120:121], v[40:41], v[130:131], -v[8:9]
	s_waitcnt vmcnt(3)
	v_mul_f64 v[8:9], v[16:17], v[138:139]
	v_mul_f64 v[112:113], v[42:43], v[124:125]
	;; [unrolled: 1-line block ×3, first 2 shown]
	v_fmac_f64_e32 v[78:79], v[26:27], v[118:119]
	v_fma_f64 v[64:65], v[64:65], v[114:115], -v[116:117]
	v_fma_f64 v[116:117], v[44:45], v[136:137], -v[8:9]
	s_waitcnt vmcnt(2)
	v_mul_f64 v[8:9], v[18:19], v[152:153]
	s_waitcnt vmcnt(1)
	v_mul_f64 v[118:119], v[58:59], v[160:161]
	;; [unrolled: 2-line block ×3, first 2 shown]
	v_fmac_f64_e32 v[110:111], v[30:31], v[80:81]
	v_fma_f64 v[80:81], v[66:67], v[80:81], -v[142:143]
	v_fmac_f64_e32 v[86:87], v[24:25], v[76:77]
	v_fma_f64 v[66:67], v[60:61], v[76:77], -v[144:145]
	v_fmac_f64_e32 v[82:83], v[28:29], v[114:115]
	v_fmac_f64_e32 v[112:113], v[10:11], v[122:123]
	v_fma_f64 v[76:77], v[42:43], v[122:123], -v[124:125]
	v_mul_f64 v[114:115], v[46:47], v[152:153]
	v_fma_f64 v[122:123], v[46:47], v[150:151], -v[8:9]
	v_fmac_f64_e32 v[118:119], v[34:35], v[158:159]
	v_mul_f64 v[8:9], v[34:35], v[160:161]
	v_fmac_f64_e32 v[130:131], v[2:3], v[162:163]
	v_mul_f64 v[2:3], v[2:3], v[164:165]
	v_fmac_f64_e32 v[102:103], v[38:39], v[96:97]
	v_fma_f64 v[70:71], v[70:71], v[96:97], -v[126:127]
	v_mul_f64 v[96:97], v[44:45], v[138:139]
	v_fmac_f64_e32 v[114:115], v[18:19], v[150:151]
	v_fma_f64 v[132:133], v[58:59], v[158:159], -v[8:9]
	v_add_f64 v[58:59], v[130:131], -v[118:119]
	v_fma_f64 v[2:3], v[6:7], v[162:163], -v[2:3]
	v_fmac_f64_e32 v[96:97], v[16:17], v[136:137]
	v_add_f64 v[156:157], v[88:89], -v[114:115]
	v_mul_f64 v[24:25], v[58:59], s[28:29]
	v_add_f64 v[146:147], v[2:3], v[132:133]
	v_add_f64 v[148:149], v[112:113], -v[96:97]
	v_mul_f64 v[18:19], v[156:157], s[34:35]
	v_add_f64 v[138:139], v[120:121], v[122:123]
	v_fma_f64 v[6:7], s[26:27], v[146:147], v[24:25]
	v_fmac_f64_e32 v[90:91], v[22:23], v[84:85]
	v_add_f64 v[144:145], v[82:83], -v[78:79]
	v_mul_f64 v[16:17], v[148:149], s[24:25]
	v_add_f64 v[136:137], v[76:77], v[116:117]
	v_fma_f64 v[22:23], s[18:19], v[138:139], v[18:19]
	v_add_f64 v[6:7], v[4:5], v[6:7]
	v_add_f64 v[142:143], v[110:111], -v[86:87]
	v_mul_f64 v[20:21], v[144:145], s[36:37]
	v_add_f64 v[134:135], v[64:65], v[62:63]
	v_add_f64 v[6:7], v[22:23], v[6:7]
	v_fma_f64 v[8:9], s[20:21], v[136:137], v[16:17]
	v_fmac_f64_e32 v[74:75], v[14:15], v[100:101]
	v_fma_f64 v[84:85], v[54:55], v[84:85], -v[140:141]
	v_add_f64 v[140:141], v[98:99], -v[90:91]
	v_add_f64 v[128:129], v[80:81], v[66:67]
	v_mul_f64 v[14:15], v[142:143], s[14:15]
	v_add_f64 v[6:7], v[8:9], v[6:7]
	v_fma_f64 v[8:9], s[8:9], v[134:135], v[20:21]
	v_fmac_f64_e32 v[108:109], v[12:13], v[72:73]
	v_add_f64 v[60:61], v[102:103], -v[94:95]
	v_add_f64 v[126:127], v[92:93], v[84:85]
	v_mul_f64 v[12:13], v[140:141], s[22:23]
	v_add_f64 v[6:7], v[8:9], v[6:7]
	v_fma_f64 v[8:9], s[10:11], v[128:129], v[14:15]
	v_add_f64 v[124:125], v[70:71], v[68:69]
	v_mul_f64 v[10:11], v[60:61], s[12:13]
	v_add_f64 v[6:7], v[8:9], v[6:7]
	v_fma_f64 v[8:9], s[0:1], v[126:127], v[12:13]
	v_add_f64 v[168:169], v[2:3], -v[132:133]
	v_add_f64 v[6:7], v[8:9], v[6:7]
	v_fma_f64 v[8:9], s[4:5], v[124:125], v[10:11]
	v_add_f64 v[150:151], v[130:131], v[118:119]
	v_mul_f64 v[22:23], v[168:169], s[28:29]
	v_add_f64 v[174:175], v[120:121], -v[122:123]
	v_add_f64 v[6:7], v[8:9], v[6:7]
	v_fma_f64 v[8:9], v[150:151], s[26:27], -v[22:23]
	v_add_f64 v[152:153], v[88:89], v[114:115]
	v_mul_f64 v[26:27], v[174:175], s[34:35]
	v_fma_f64 v[24:25], v[146:147], s[26:27], -v[24:25]
	v_add_f64 v[8:9], v[0:1], v[8:9]
	v_fma_f64 v[28:29], v[152:153], s[18:19], -v[26:27]
	v_add_f64 v[170:171], v[76:77], -v[116:117]
	v_fma_f64 v[18:19], v[138:139], s[18:19], -v[18:19]
	v_add_f64 v[24:25], v[4:5], v[24:25]
	v_add_f64 v[8:9], v[28:29], v[8:9]
	;; [unrolled: 1-line block ×3, first 2 shown]
	v_mul_f64 v[28:29], v[170:171], s[24:25]
	v_add_f64 v[18:19], v[18:19], v[24:25]
	v_fma_f64 v[16:17], v[136:137], s[20:21], -v[16:17]
	v_fma_f64 v[30:31], v[154:155], s[20:21], -v[28:29]
	v_add_f64 v[172:173], v[64:65], -v[62:63]
	v_add_f64 v[16:17], v[16:17], v[18:19]
	v_fma_f64 v[18:19], v[134:135], s[8:9], -v[20:21]
	v_add_f64 v[8:9], v[30:31], v[8:9]
	v_add_f64 v[158:159], v[82:83], v[78:79]
	v_mul_f64 v[30:31], v[172:173], s[36:37]
	v_add_f64 v[16:17], v[18:19], v[16:17]
	v_fma_f64 v[14:15], v[128:129], s[10:11], -v[14:15]
	v_fma_f64 v[72:73], v[48:49], v[72:73], -v[32:33]
	;; [unrolled: 1-line block ×3, first 2 shown]
	v_add_f64 v[176:177], v[80:81], -v[66:67]
	v_add_f64 v[14:15], v[14:15], v[16:17]
	v_fma_f64 v[12:13], v[126:127], s[0:1], -v[12:13]
	v_add_f64 v[8:9], v[32:33], v[8:9]
	v_add_f64 v[160:161], v[110:111], v[86:87]
	v_mul_f64 v[32:33], v[176:177], s[14:15]
	v_add_f64 v[12:13], v[12:13], v[14:15]
	v_fma_f64 v[10:11], v[124:125], s[4:5], -v[10:11]
	v_fmac_f64_e32 v[22:23], s[26:27], v[150:151]
	v_fma_f64 v[34:35], v[160:161], s[10:11], -v[32:33]
	v_add_f64 v[180:181], v[92:93], -v[84:85]
	v_add_f64 v[10:11], v[10:11], v[12:13]
	v_fmac_f64_e32 v[26:27], s[18:19], v[152:153]
	v_add_f64 v[12:13], v[0:1], v[22:23]
	v_add_f64 v[8:9], v[34:35], v[8:9]
	v_add_f64 v[162:163], v[98:99], v[90:91]
	v_mul_f64 v[34:35], v[180:181], s[22:23]
	v_add_f64 v[12:13], v[26:27], v[12:13]
	v_fmac_f64_e32 v[28:29], s[20:21], v[154:155]
	v_fma_f64 v[36:37], v[162:163], s[0:1], -v[34:35]
	v_add_f64 v[182:183], v[70:71], -v[68:69]
	v_add_f64 v[12:13], v[28:29], v[12:13]
	v_fmac_f64_e32 v[30:31], s[8:9], v[158:159]
	v_fma_f64 v[100:101], v[50:51], v[100:101], -v[56:57]
	v_add_f64 v[8:9], v[36:37], v[8:9]
	v_add_f64 v[164:165], v[102:103], v[94:95]
	v_mul_f64 v[36:37], v[182:183], s[12:13]
	v_add_f64 v[184:185], v[108:109], -v[74:75]
	v_add_f64 v[12:13], v[30:31], v[12:13]
	v_fmac_f64_e32 v[32:33], s[10:11], v[160:161]
	v_fma_f64 v[38:39], v[164:165], s[4:5], -v[36:37]
	v_mul_f64 v[40:41], v[184:185], s[52:53]
	v_add_f64 v[178:179], v[72:73], v[100:101]
	v_add_f64 v[186:187], v[72:73], -v[100:101]
	v_add_f64 v[12:13], v[32:33], v[12:13]
	v_fmac_f64_e32 v[34:35], s[0:1], v[162:163]
	v_add_f64 v[38:39], v[38:39], v[8:9]
	v_fma_f64 v[8:9], s[30:31], v[178:179], v[40:41]
	v_add_f64 v[166:167], v[108:109], v[74:75]
	v_mul_f64 v[42:43], v[186:187], s[52:53]
	v_add_f64 v[12:13], v[34:35], v[12:13]
	v_fmac_f64_e32 v[36:37], s[4:5], v[164:165]
	v_add_f64 v[8:9], v[8:9], v[6:7]
	v_fma_f64 v[6:7], v[166:167], s[30:31], -v[42:43]
	v_add_f64 v[14:15], v[36:37], v[12:13]
	v_fma_f64 v[12:13], v[178:179], s[30:31], -v[40:41]
	v_fmac_f64_e32 v[42:43], s[30:31], v[166:167]
	v_mul_f64 v[18:19], v[58:59], s[24:25]
	v_add_f64 v[12:13], v[12:13], v[10:11]
	v_add_f64 v[10:11], v[42:43], v[14:15]
	v_fma_f64 v[14:15], s[20:21], v[146:147], v[18:19]
	v_mul_f64 v[20:21], v[156:157], s[22:23]
	v_add_f64 v[14:15], v[4:5], v[14:15]
	v_fma_f64 v[16:17], s[0:1], v[138:139], v[20:21]
	v_mul_f64 v[22:23], v[148:149], s[38:39]
	;; [unrolled: 3-line block ×7, first 2 shown]
	v_add_f64 v[14:15], v[16:17], v[14:15]
	v_fma_f64 v[16:17], v[150:151], s[20:21], -v[32:33]
	v_mul_f64 v[34:35], v[174:175], s[22:23]
	v_fma_f64 v[18:19], v[146:147], s[20:21], -v[18:19]
	v_add_f64 v[16:17], v[0:1], v[16:17]
	v_fma_f64 v[36:37], v[152:153], s[0:1], -v[34:35]
	v_fma_f64 v[20:21], v[138:139], s[0:1], -v[20:21]
	v_add_f64 v[18:19], v[4:5], v[18:19]
	v_add_f64 v[16:17], v[36:37], v[16:17]
	v_mul_f64 v[36:37], v[170:171], s[38:39]
	v_add_f64 v[18:19], v[20:21], v[18:19]
	v_fma_f64 v[20:21], v[136:137], s[30:31], -v[22:23]
	v_add_f64 v[6:7], v[6:7], v[38:39]
	v_fma_f64 v[38:39], v[154:155], s[30:31], -v[36:37]
	;; [unrolled: 2-line block ×3, first 2 shown]
	v_add_f64 v[16:17], v[38:39], v[16:17]
	v_mul_f64 v[38:39], v[172:173], s[48:49]
	v_add_f64 v[18:19], v[20:21], v[18:19]
	v_fma_f64 v[20:21], v[128:129], s[18:19], -v[26:27]
	v_fma_f64 v[40:41], v[158:159], s[10:11], -v[38:39]
	v_add_f64 v[18:19], v[20:21], v[18:19]
	v_fma_f64 v[20:21], v[126:127], s[26:27], -v[28:29]
	v_add_f64 v[16:17], v[40:41], v[16:17]
	v_mul_f64 v[40:41], v[176:177], s[40:41]
	v_add_f64 v[18:19], v[20:21], v[18:19]
	v_fma_f64 v[20:21], v[124:125], s[8:9], -v[30:31]
	v_fmac_f64_e32 v[32:33], s[20:21], v[150:151]
	v_fma_f64 v[42:43], v[160:161], s[18:19], -v[40:41]
	v_add_f64 v[18:19], v[20:21], v[18:19]
	v_fmac_f64_e32 v[34:35], s[0:1], v[152:153]
	v_add_f64 v[20:21], v[0:1], v[32:33]
	v_add_f64 v[16:17], v[42:43], v[16:17]
	v_mul_f64 v[42:43], v[180:181], s[28:29]
	v_add_f64 v[20:21], v[34:35], v[20:21]
	v_fmac_f64_e32 v[36:37], s[30:31], v[154:155]
	v_fma_f64 v[44:45], v[162:163], s[26:27], -v[42:43]
	v_add_f64 v[20:21], v[36:37], v[20:21]
	v_fmac_f64_e32 v[38:39], s[10:11], v[158:159]
	v_add_f64 v[16:17], v[44:45], v[16:17]
	v_mul_f64 v[44:45], v[182:183], s[36:37]
	v_add_f64 v[20:21], v[38:39], v[20:21]
	v_fmac_f64_e32 v[40:41], s[18:19], v[160:161]
	v_fma_f64 v[46:47], v[164:165], s[8:9], -v[44:45]
	v_mul_f64 v[48:49], v[184:185], s[12:13]
	v_add_f64 v[20:21], v[40:41], v[20:21]
	v_fmac_f64_e32 v[42:43], s[26:27], v[162:163]
	v_add_f64 v[46:47], v[46:47], v[16:17]
	v_fma_f64 v[16:17], s[4:5], v[178:179], v[48:49]
	v_mul_f64 v[50:51], v[186:187], s[12:13]
	v_add_f64 v[20:21], v[42:43], v[20:21]
	v_fmac_f64_e32 v[44:45], s[8:9], v[164:165]
	v_add_f64 v[16:17], v[16:17], v[14:15]
	v_fma_f64 v[14:15], v[166:167], s[4:5], -v[50:51]
	v_add_f64 v[22:23], v[44:45], v[20:21]
	v_fma_f64 v[20:21], v[178:179], s[4:5], -v[48:49]
	v_fmac_f64_e32 v[50:51], s[4:5], v[166:167]
	v_mul_f64 v[26:27], v[58:59], s[14:15]
	v_add_f64 v[20:21], v[20:21], v[18:19]
	v_add_f64 v[18:19], v[50:51], v[22:23]
	v_fma_f64 v[22:23], s[10:11], v[146:147], v[26:27]
	v_mul_f64 v[28:29], v[156:157], s[44:45]
	v_add_f64 v[22:23], v[4:5], v[22:23]
	v_fma_f64 v[24:25], s[4:5], v[138:139], v[28:29]
	v_mul_f64 v[30:31], v[148:149], s[40:41]
	;; [unrolled: 3-line block ×7, first 2 shown]
	v_add_f64 v[22:23], v[24:25], v[22:23]
	v_fma_f64 v[24:25], v[150:151], s[10:11], -v[40:41]
	v_mul_f64 v[42:43], v[174:175], s[44:45]
	v_fma_f64 v[26:27], v[146:147], s[10:11], -v[26:27]
	v_add_f64 v[24:25], v[0:1], v[24:25]
	v_fma_f64 v[44:45], v[152:153], s[4:5], -v[42:43]
	v_fma_f64 v[28:29], v[138:139], s[4:5], -v[28:29]
	v_add_f64 v[26:27], v[4:5], v[26:27]
	v_add_f64 v[24:25], v[44:45], v[24:25]
	v_mul_f64 v[44:45], v[170:171], s[40:41]
	v_add_f64 v[26:27], v[28:29], v[26:27]
	v_fma_f64 v[28:29], v[136:137], s[18:19], -v[30:31]
	v_add_f64 v[14:15], v[14:15], v[46:47]
	v_fma_f64 v[46:47], v[154:155], s[18:19], -v[44:45]
	;; [unrolled: 2-line block ×3, first 2 shown]
	v_add_f64 v[24:25], v[46:47], v[24:25]
	v_mul_f64 v[46:47], v[172:173], s[24:25]
	v_add_f64 v[26:27], v[28:29], v[26:27]
	v_fma_f64 v[28:29], v[128:129], s[30:31], -v[34:35]
	v_fma_f64 v[48:49], v[158:159], s[20:21], -v[46:47]
	v_add_f64 v[26:27], v[28:29], v[26:27]
	v_fma_f64 v[28:29], v[126:127], s[8:9], -v[36:37]
	v_add_f64 v[24:25], v[48:49], v[24:25]
	v_mul_f64 v[48:49], v[176:177], s[52:53]
	v_add_f64 v[26:27], v[28:29], v[26:27]
	v_fma_f64 v[28:29], v[124:125], s[26:27], -v[38:39]
	v_fmac_f64_e32 v[40:41], s[10:11], v[150:151]
	v_fma_f64 v[50:51], v[160:161], s[30:31], -v[48:49]
	v_add_f64 v[26:27], v[28:29], v[26:27]
	v_fmac_f64_e32 v[42:43], s[4:5], v[152:153]
	v_add_f64 v[28:29], v[0:1], v[40:41]
	v_add_f64 v[24:25], v[50:51], v[24:25]
	v_mul_f64 v[50:51], v[180:181], s[42:43]
	v_add_f64 v[28:29], v[42:43], v[28:29]
	v_fmac_f64_e32 v[44:45], s[18:19], v[154:155]
	v_fma_f64 v[52:53], v[162:163], s[8:9], -v[50:51]
	v_add_f64 v[28:29], v[44:45], v[28:29]
	v_fmac_f64_e32 v[46:47], s[20:21], v[158:159]
	v_add_f64 v[24:25], v[52:53], v[24:25]
	v_mul_f64 v[52:53], v[182:183], s[28:29]
	v_add_f64 v[28:29], v[46:47], v[28:29]
	v_fmac_f64_e32 v[48:49], s[30:31], v[160:161]
	v_fma_f64 v[54:55], v[164:165], s[26:27], -v[52:53]
	v_mul_f64 v[56:57], v[184:185], s[22:23]
	v_add_f64 v[28:29], v[48:49], v[28:29]
	v_fmac_f64_e32 v[50:51], s[8:9], v[162:163]
	v_add_f64 v[54:55], v[54:55], v[24:25]
	v_fma_f64 v[24:25], s[0:1], v[178:179], v[56:57]
	v_mul_f64 v[190:191], v[186:187], s[22:23]
	v_add_f64 v[28:29], v[50:51], v[28:29]
	v_fmac_f64_e32 v[52:53], s[26:27], v[164:165]
	v_add_f64 v[24:25], v[24:25], v[22:23]
	v_fma_f64 v[22:23], v[166:167], s[0:1], -v[190:191]
	v_add_f64 v[30:31], v[52:53], v[28:29]
	v_fma_f64 v[28:29], v[178:179], s[0:1], -v[56:57]
	v_fmac_f64_e32 v[190:191], s[0:1], v[166:167]
	v_mul_f64 v[34:35], v[58:59], s[12:13]
	v_add_f64 v[28:29], v[28:29], v[26:27]
	v_add_f64 v[26:27], v[190:191], v[30:31]
	v_fma_f64 v[30:31], s[4:5], v[146:147], v[34:35]
	v_mul_f64 v[36:37], v[156:157], s[50:51]
	v_add_f64 v[30:31], v[4:5], v[30:31]
	v_fma_f64 v[32:33], s[20:21], v[138:139], v[36:37]
	v_mul_f64 v[38:39], v[148:149], s[36:37]
	;; [unrolled: 3-line block ×7, first 2 shown]
	v_add_f64 v[30:31], v[32:33], v[30:31]
	v_fma_f64 v[32:33], v[150:151], s[4:5], -v[48:49]
	v_mul_f64 v[50:51], v[174:175], s[50:51]
	v_fma_f64 v[34:35], v[146:147], s[4:5], -v[34:35]
	v_add_f64 v[32:33], v[0:1], v[32:33]
	v_fma_f64 v[52:53], v[152:153], s[20:21], -v[50:51]
	v_fma_f64 v[36:37], v[138:139], s[20:21], -v[36:37]
	v_add_f64 v[34:35], v[4:5], v[34:35]
	v_add_f64 v[32:33], v[52:53], v[32:33]
	v_mul_f64 v[52:53], v[170:171], s[36:37]
	v_add_f64 v[34:35], v[36:37], v[34:35]
	v_fma_f64 v[36:37], v[136:137], s[8:9], -v[38:39]
	v_add_f64 v[22:23], v[22:23], v[54:55]
	v_fma_f64 v[54:55], v[154:155], s[8:9], -v[52:53]
	;; [unrolled: 2-line block ×3, first 2 shown]
	v_add_f64 v[32:33], v[54:55], v[32:33]
	v_mul_f64 v[54:55], v[172:173], s[46:47]
	v_add_f64 v[34:35], v[36:37], v[34:35]
	v_fma_f64 v[36:37], v[128:129], s[26:27], -v[42:43]
	v_fma_f64 v[56:57], v[158:159], s[0:1], -v[54:55]
	v_add_f64 v[34:35], v[36:37], v[34:35]
	v_fma_f64 v[36:37], v[126:127], s[30:31], -v[44:45]
	v_add_f64 v[32:33], v[56:57], v[32:33]
	v_mul_f64 v[56:57], v[176:177], s[28:29]
	v_add_f64 v[34:35], v[36:37], v[34:35]
	v_fma_f64 v[36:37], v[124:125], s[18:19], -v[46:47]
	v_fmac_f64_e32 v[48:49], s[4:5], v[150:151]
	v_fma_f64 v[190:191], v[160:161], s[26:27], -v[56:57]
	v_add_f64 v[34:35], v[36:37], v[34:35]
	v_fmac_f64_e32 v[50:51], s[20:21], v[152:153]
	v_add_f64 v[36:37], v[0:1], v[48:49]
	v_add_f64 v[32:33], v[190:191], v[32:33]
	v_mul_f64 v[190:191], v[180:181], s[52:53]
	v_add_f64 v[36:37], v[50:51], v[36:37]
	v_fmac_f64_e32 v[52:53], s[8:9], v[154:155]
	v_fma_f64 v[192:193], v[162:163], s[30:31], -v[190:191]
	v_add_f64 v[36:37], v[52:53], v[36:37]
	v_fmac_f64_e32 v[54:55], s[0:1], v[158:159]
	v_add_f64 v[32:33], v[192:193], v[32:33]
	v_mul_f64 v[192:193], v[182:183], s[40:41]
	v_add_f64 v[36:37], v[54:55], v[36:37]
	v_fmac_f64_e32 v[56:57], s[26:27], v[160:161]
	v_fma_f64 v[194:195], v[164:165], s[18:19], -v[192:193]
	v_mul_f64 v[196:197], v[184:185], s[14:15]
	v_add_f64 v[36:37], v[56:57], v[36:37]
	v_fmac_f64_e32 v[190:191], s[30:31], v[162:163]
	v_add_f64 v[194:195], v[194:195], v[32:33]
	v_fma_f64 v[32:33], s[10:11], v[178:179], v[196:197]
	v_mul_f64 v[198:199], v[186:187], s[14:15]
	v_add_f64 v[36:37], v[190:191], v[36:37]
	v_fmac_f64_e32 v[192:193], s[18:19], v[164:165]
	v_fma_f64 v[38:39], v[178:179], s[10:11], -v[196:197]
	v_mul_f64 v[42:43], v[58:59], s[38:39]
	v_add_f64 v[32:33], v[32:33], v[30:31]
	v_fma_f64 v[30:31], v[166:167], s[10:11], -v[198:199]
	v_add_f64 v[36:37], v[192:193], v[36:37]
	v_add_f64 v[40:41], v[38:39], v[34:35]
	v_fmac_f64_e32 v[198:199], s[10:11], v[166:167]
	v_fma_f64 v[34:35], s[30:31], v[146:147], v[42:43]
	v_mul_f64 v[44:45], v[156:157], s[28:29]
	v_add_f64 v[38:39], v[198:199], v[36:37]
	v_add_f64 v[34:35], v[4:5], v[34:35]
	v_fma_f64 v[36:37], s[26:27], v[138:139], v[44:45]
	v_mul_f64 v[46:47], v[148:149], s[44:45]
	v_add_f64 v[34:35], v[36:37], v[34:35]
	v_fma_f64 v[36:37], s[4:5], v[136:137], v[46:47]
	v_mul_f64 v[48:49], v[144:145], s[34:35]
	;; [unrolled: 3-line block ×6, first 2 shown]
	v_add_f64 v[34:35], v[36:37], v[34:35]
	v_fma_f64 v[36:37], v[150:151], s[30:31], -v[56:57]
	v_mul_f64 v[190:191], v[174:175], s[28:29]
	v_fma_f64 v[42:43], v[146:147], s[30:31], -v[42:43]
	v_add_f64 v[36:37], v[0:1], v[36:37]
	v_fma_f64 v[192:193], v[152:153], s[26:27], -v[190:191]
	v_fma_f64 v[44:45], v[138:139], s[26:27], -v[44:45]
	v_add_f64 v[42:43], v[4:5], v[42:43]
	v_add_f64 v[36:37], v[192:193], v[36:37]
	v_mul_f64 v[192:193], v[170:171], s[44:45]
	v_add_f64 v[42:43], v[44:45], v[42:43]
	v_fma_f64 v[44:45], v[136:137], s[4:5], -v[46:47]
	v_add_f64 v[30:31], v[30:31], v[194:195]
	v_fma_f64 v[194:195], v[154:155], s[4:5], -v[192:193]
	;; [unrolled: 2-line block ×3, first 2 shown]
	v_add_f64 v[36:37], v[194:195], v[36:37]
	v_mul_f64 v[194:195], v[172:173], s[34:35]
	v_add_f64 v[42:43], v[44:45], v[42:43]
	v_fma_f64 v[44:45], v[128:129], s[0:1], -v[50:51]
	v_fma_f64 v[196:197], v[158:159], s[18:19], -v[194:195]
	v_add_f64 v[42:43], v[44:45], v[42:43]
	v_fma_f64 v[44:45], v[126:127], s[20:21], -v[52:53]
	v_add_f64 v[36:37], v[196:197], v[36:37]
	v_mul_f64 v[196:197], v[176:177], s[46:47]
	v_add_f64 v[42:43], v[44:45], v[42:43]
	v_fma_f64 v[44:45], v[124:125], s[10:11], -v[54:55]
	v_fmac_f64_e32 v[56:57], s[30:31], v[150:151]
	v_fma_f64 v[198:199], v[160:161], s[0:1], -v[196:197]
	v_add_f64 v[42:43], v[44:45], v[42:43]
	v_fmac_f64_e32 v[190:191], s[26:27], v[152:153]
	v_add_f64 v[44:45], v[0:1], v[56:57]
	v_add_f64 v[36:37], v[198:199], v[36:37]
	v_mul_f64 v[198:199], v[180:181], s[24:25]
	v_add_f64 v[44:45], v[190:191], v[44:45]
	v_fmac_f64_e32 v[192:193], s[4:5], v[154:155]
	v_fma_f64 v[200:201], v[162:163], s[20:21], -v[198:199]
	v_add_f64 v[44:45], v[192:193], v[44:45]
	v_fmac_f64_e32 v[194:195], s[18:19], v[158:159]
	v_add_f64 v[36:37], v[200:201], v[36:37]
	v_mul_f64 v[200:201], v[182:183], s[48:49]
	v_add_f64 v[44:45], v[194:195], v[44:45]
	v_fmac_f64_e32 v[196:197], s[0:1], v[160:161]
	v_fma_f64 v[202:203], v[164:165], s[10:11], -v[200:201]
	v_mul_f64 v[204:205], v[184:185], s[36:37]
	v_add_f64 v[44:45], v[196:197], v[44:45]
	v_fmac_f64_e32 v[198:199], s[20:21], v[162:163]
	v_add_f64 v[202:203], v[202:203], v[36:37]
	v_fma_f64 v[36:37], s[8:9], v[178:179], v[204:205]
	v_mul_f64 v[206:207], v[186:187], s[36:37]
	v_add_f64 v[44:45], v[198:199], v[44:45]
	v_fmac_f64_e32 v[200:201], s[10:11], v[164:165]
	v_fma_f64 v[46:47], v[178:179], s[8:9], -v[204:205]
	v_mul_f64 v[50:51], v[58:59], s[46:47]
	v_add_f64 v[36:37], v[36:37], v[34:35]
	v_fma_f64 v[34:35], v[166:167], s[8:9], -v[206:207]
	v_add_f64 v[44:45], v[200:201], v[44:45]
	v_add_f64 v[48:49], v[46:47], v[42:43]
	v_fmac_f64_e32 v[206:207], s[8:9], v[166:167]
	v_fma_f64 v[42:43], s[0:1], v[146:147], v[50:51]
	v_mul_f64 v[52:53], v[156:157], s[14:15]
	s_mov_b32 s49, 0x3fc7851a
	s_mov_b32 s48, s28
	v_add_f64 v[46:47], v[206:207], v[44:45]
	v_add_f64 v[42:43], v[4:5], v[42:43]
	v_fma_f64 v[44:45], s[10:11], v[138:139], v[52:53]
	v_mul_f64 v[54:55], v[148:149], s[48:49]
	v_add_f64 v[42:43], v[44:45], v[42:43]
	v_fma_f64 v[44:45], s[26:27], v[136:137], v[54:55]
	v_mul_f64 v[56:57], v[144:145], s[44:45]
	;; [unrolled: 3-line block ×6, first 2 shown]
	v_add_f64 v[42:43], v[44:45], v[42:43]
	v_fma_f64 v[44:45], v[150:151], s[0:1], -v[196:197]
	v_mul_f64 v[198:199], v[174:175], s[14:15]
	v_fma_f64 v[50:51], v[146:147], s[0:1], -v[50:51]
	v_add_f64 v[44:45], v[0:1], v[44:45]
	v_fma_f64 v[200:201], v[152:153], s[10:11], -v[198:199]
	v_fma_f64 v[52:53], v[138:139], s[10:11], -v[52:53]
	v_add_f64 v[50:51], v[4:5], v[50:51]
	v_add_f64 v[44:45], v[200:201], v[44:45]
	v_mul_f64 v[200:201], v[170:171], s[48:49]
	v_add_f64 v[50:51], v[52:53], v[50:51]
	v_fma_f64 v[52:53], v[136:137], s[26:27], -v[54:55]
	v_add_f64 v[34:35], v[34:35], v[202:203]
	v_fma_f64 v[202:203], v[154:155], s[26:27], -v[200:201]
	v_add_f64 v[50:51], v[52:53], v[50:51]
	v_fma_f64 v[52:53], v[134:135], s[4:5], -v[56:57]
	v_add_f64 v[44:45], v[202:203], v[44:45]
	v_mul_f64 v[202:203], v[172:173], s[44:45]
	v_add_f64 v[50:51], v[52:53], v[50:51]
	v_fma_f64 v[52:53], v[128:129], s[8:9], -v[190:191]
	v_fma_f64 v[204:205], v[158:159], s[4:5], -v[202:203]
	v_add_f64 v[50:51], v[52:53], v[50:51]
	v_fma_f64 v[52:53], v[126:127], s[18:19], -v[192:193]
	v_add_f64 v[44:45], v[204:205], v[44:45]
	v_mul_f64 v[204:205], v[176:177], s[36:37]
	v_add_f64 v[50:51], v[52:53], v[50:51]
	v_fma_f64 v[52:53], v[124:125], s[30:31], -v[194:195]
	v_fmac_f64_e32 v[196:197], s[0:1], v[150:151]
	v_fma_f64 v[206:207], v[160:161], s[8:9], -v[204:205]
	v_add_f64 v[50:51], v[52:53], v[50:51]
	v_fmac_f64_e32 v[198:199], s[10:11], v[152:153]
	v_add_f64 v[52:53], v[0:1], v[196:197]
	v_add_f64 v[44:45], v[206:207], v[44:45]
	v_mul_f64 v[206:207], v[180:181], s[40:41]
	v_add_f64 v[52:53], v[198:199], v[52:53]
	v_fmac_f64_e32 v[200:201], s[26:27], v[154:155]
	v_fma_f64 v[208:209], v[162:163], s[18:19], -v[206:207]
	v_add_f64 v[52:53], v[200:201], v[52:53]
	v_fmac_f64_e32 v[202:203], s[4:5], v[158:159]
	v_add_f64 v[44:45], v[208:209], v[44:45]
	v_mul_f64 v[208:209], v[182:183], s[38:39]
	v_add_f64 v[52:53], v[202:203], v[52:53]
	v_fmac_f64_e32 v[204:205], s[8:9], v[160:161]
	v_fma_f64 v[210:211], v[164:165], s[30:31], -v[208:209]
	v_mul_f64 v[212:213], v[184:185], s[24:25]
	v_add_f64 v[52:53], v[204:205], v[52:53]
	v_fmac_f64_e32 v[206:207], s[18:19], v[162:163]
	v_add_f64 v[210:211], v[210:211], v[44:45]
	v_fma_f64 v[44:45], s[20:21], v[178:179], v[212:213]
	v_mul_f64 v[214:215], v[186:187], s[24:25]
	v_add_f64 v[52:53], v[206:207], v[52:53]
	v_fmac_f64_e32 v[208:209], s[30:31], v[164:165]
	v_fma_f64 v[54:55], v[178:179], s[20:21], -v[212:213]
	v_mul_f64 v[190:191], v[58:59], s[42:43]
	v_add_f64 v[44:45], v[44:45], v[42:43]
	v_fma_f64 v[42:43], v[166:167], s[20:21], -v[214:215]
	v_add_f64 v[52:53], v[208:209], v[52:53]
	v_add_f64 v[56:57], v[54:55], v[50:51]
	v_fmac_f64_e32 v[214:215], s[20:21], v[166:167]
	v_fma_f64 v[50:51], s[8:9], v[146:147], v[190:191]
	v_mul_f64 v[192:193], v[156:157], s[38:39]
	v_add_f64 v[54:55], v[214:215], v[52:53]
	v_add_f64 v[50:51], v[4:5], v[50:51]
	v_fma_f64 v[52:53], s[30:31], v[138:139], v[192:193]
	v_mul_f64 v[194:195], v[148:149], s[14:15]
	v_add_f64 v[50:51], v[52:53], v[50:51]
	v_fma_f64 v[52:53], s[10:11], v[136:137], v[194:195]
	v_mul_f64 v[196:197], v[144:145], s[28:29]
	;; [unrolled: 3-line block ×6, first 2 shown]
	v_add_f64 v[50:51], v[52:53], v[50:51]
	v_fma_f64 v[52:53], v[150:151], s[8:9], -v[204:205]
	v_mul_f64 v[206:207], v[174:175], s[38:39]
	v_fma_f64 v[190:191], v[146:147], s[8:9], -v[190:191]
	v_add_f64 v[52:53], v[0:1], v[52:53]
	v_fma_f64 v[208:209], v[152:153], s[30:31], -v[206:207]
	v_fma_f64 v[192:193], v[138:139], s[30:31], -v[192:193]
	v_add_f64 v[190:191], v[4:5], v[190:191]
	v_add_f64 v[52:53], v[208:209], v[52:53]
	v_mul_f64 v[208:209], v[170:171], s[14:15]
	v_add_f64 v[190:191], v[192:193], v[190:191]
	v_fma_f64 v[192:193], v[136:137], s[10:11], -v[194:195]
	v_add_f64 v[42:43], v[42:43], v[210:211]
	v_fma_f64 v[210:211], v[154:155], s[10:11], -v[208:209]
	v_add_f64 v[190:191], v[192:193], v[190:191]
	v_fma_f64 v[192:193], v[134:135], s[26:27], -v[196:197]
	v_add_f64 v[52:53], v[210:211], v[52:53]
	v_mul_f64 v[210:211], v[172:173], s[28:29]
	v_add_f64 v[190:191], v[192:193], v[190:191]
	v_fma_f64 v[192:193], v[128:129], s[20:21], -v[198:199]
	v_fma_f64 v[212:213], v[158:159], s[26:27], -v[210:211]
	v_add_f64 v[190:191], v[192:193], v[190:191]
	v_fma_f64 v[192:193], v[126:127], s[4:5], -v[200:201]
	v_add_f64 v[52:53], v[212:213], v[52:53]
	v_mul_f64 v[212:213], v[176:177], s[50:51]
	v_add_f64 v[190:191], v[192:193], v[190:191]
	v_fma_f64 v[192:193], v[124:125], s[0:1], -v[202:203]
	v_fmac_f64_e32 v[204:205], s[8:9], v[150:151]
	v_fma_f64 v[214:215], v[160:161], s[20:21], -v[212:213]
	v_add_f64 v[190:191], v[192:193], v[190:191]
	v_fmac_f64_e32 v[206:207], s[30:31], v[152:153]
	v_add_f64 v[192:193], v[0:1], v[204:205]
	v_add_f64 v[52:53], v[214:215], v[52:53]
	v_mul_f64 v[214:215], v[180:181], s[44:45]
	v_add_f64 v[192:193], v[206:207], v[192:193]
	v_fmac_f64_e32 v[208:209], s[10:11], v[154:155]
	v_fma_f64 v[216:217], v[162:163], s[4:5], -v[214:215]
	v_add_f64 v[192:193], v[208:209], v[192:193]
	v_fmac_f64_e32 v[210:211], s[26:27], v[158:159]
	v_add_f64 v[52:53], v[216:217], v[52:53]
	v_mul_f64 v[216:217], v[182:183], s[22:23]
	v_add_f64 v[192:193], v[210:211], v[192:193]
	v_fmac_f64_e32 v[212:213], s[20:21], v[160:161]
	v_fma_f64 v[218:219], v[164:165], s[0:1], -v[216:217]
	v_mul_f64 v[220:221], v[184:185], s[34:35]
	v_add_f64 v[192:193], v[212:213], v[192:193]
	v_fmac_f64_e32 v[214:215], s[4:5], v[162:163]
	v_add_f64 v[218:219], v[218:219], v[52:53]
	v_fma_f64 v[52:53], s[18:19], v[178:179], v[220:221]
	v_mul_f64 v[222:223], v[186:187], s[34:35]
	v_add_f64 v[192:193], v[214:215], v[192:193]
	v_fmac_f64_e32 v[216:217], s[0:1], v[164:165]
	v_add_f64 v[52:53], v[52:53], v[50:51]
	v_fma_f64 v[50:51], v[166:167], s[18:19], -v[222:223]
	v_add_f64 v[194:195], v[216:217], v[192:193]
	v_fma_f64 v[192:193], v[178:179], s[18:19], -v[220:221]
	v_fmac_f64_e32 v[222:223], s[18:19], v[166:167]
	v_add_f64 v[192:193], v[192:193], v[190:191]
	v_add_f64 v[190:191], v[222:223], v[194:195]
	v_mul_f64 v[194:195], v[58:59], s[40:41]
	v_mul_f64 v[156:157], v[156:157], s[42:43]
	v_fma_f64 v[58:59], s[18:19], v[146:147], v[194:195]
	v_add_f64 v[58:59], v[4:5], v[58:59]
	v_fma_f64 v[196:197], s[8:9], v[138:139], v[156:157]
	v_mul_f64 v[148:149], v[148:149], s[46:47]
	v_add_f64 v[58:59], v[196:197], v[58:59]
	v_fma_f64 v[196:197], s[0:1], v[136:137], v[148:149]
	v_mul_f64 v[144:145], v[144:145], s[38:39]
	;; [unrolled: 3-line block ×4, first 2 shown]
	v_add_f64 v[58:59], v[196:197], v[58:59]
	v_fma_f64 v[196:197], s[10:11], v[126:127], v[140:141]
	v_fma_f64 v[126:127], v[126:127], s[10:11], -v[140:141]
	v_fma_f64 v[140:141], v[146:147], s[18:19], -v[194:195]
	;; [unrolled: 1-line block ×3, first 2 shown]
	v_add_f64 v[140:141], v[4:5], v[140:141]
	v_fma_f64 v[136:137], v[136:137], s[0:1], -v[148:149]
	v_add_f64 v[138:139], v[138:139], v[140:141]
	v_fma_f64 v[134:135], v[134:135], s[30:31], -v[144:145]
	v_add_f64 v[136:137], v[136:137], v[138:139]
	v_add_f64 v[58:59], v[196:197], v[58:59]
	v_mul_f64 v[196:197], v[60:61], s[24:25]
	v_fma_f64 v[128:129], v[128:129], s[4:5], -v[142:143]
	v_add_f64 v[134:135], v[134:135], v[136:137]
	v_fma_f64 v[60:61], s[20:21], v[124:125], v[196:197]
	v_mul_f64 v[168:169], v[168:169], s[40:41]
	v_add_f64 v[128:129], v[128:129], v[134:135]
	v_add_f64 v[58:59], v[60:61], v[58:59]
	v_fma_f64 v[60:61], v[150:151], s[18:19], -v[168:169]
	v_fma_f64 v[124:125], v[124:125], s[20:21], -v[196:197]
	v_add_f64 v[126:127], v[126:127], v[128:129]
	v_fmac_f64_e32 v[168:169], s[18:19], v[150:151]
	v_add_f64 v[2:3], v[4:5], v[2:3]
	v_add_f64 v[60:61], v[0:1], v[60:61]
	v_add_f64 v[124:125], v[124:125], v[126:127]
	v_add_f64 v[126:127], v[0:1], v[168:169]
	v_add_f64 v[2:3], v[120:121], v[2:3]
	v_add_f64 v[0:1], v[0:1], v[130:131]
	v_add_f64 v[2:3], v[76:77], v[2:3]
	v_add_f64 v[0:1], v[88:89], v[0:1]
	v_mul_f64 v[174:175], v[174:175], s[42:43]
	v_add_f64 v[2:3], v[64:65], v[2:3]
	v_add_f64 v[0:1], v[112:113], v[0:1]
	v_fma_f64 v[198:199], v[152:153], s[8:9], -v[174:175]
	v_mul_f64 v[170:171], v[170:171], s[46:47]
	v_add_f64 v[2:3], v[80:81], v[2:3]
	v_add_f64 v[0:1], v[82:83], v[0:1]
	;; [unrolled: 1-line block ×3, first 2 shown]
	v_fma_f64 v[198:199], v[154:155], s[0:1], -v[170:171]
	v_mul_f64 v[172:173], v[172:173], s[38:39]
	v_fmac_f64_e32 v[174:175], s[8:9], v[152:153]
	v_add_f64 v[2:3], v[92:93], v[2:3]
	v_add_f64 v[0:1], v[110:111], v[0:1]
	v_add_f64 v[60:61], v[198:199], v[60:61]
	v_fma_f64 v[198:199], v[158:159], s[30:31], -v[172:173]
	v_mul_f64 v[176:177], v[176:177], s[12:13]
	v_fmac_f64_e32 v[170:171], s[0:1], v[154:155]
	v_add_f64 v[126:127], v[174:175], v[126:127]
	v_add_f64 v[2:3], v[70:71], v[2:3]
	v_add_f64 v[0:1], v[98:99], v[0:1]
	v_add_f64 v[60:61], v[198:199], v[60:61]
	v_fma_f64 v[198:199], v[160:161], s[4:5], -v[176:177]
	v_mul_f64 v[180:181], v[180:181], s[14:15]
	v_fmac_f64_e32 v[172:173], s[30:31], v[158:159]
	v_add_f64 v[126:127], v[170:171], v[126:127]
	;; [unrolled: 7-line block ×4, first 2 shown]
	v_add_f64 v[2:3], v[68:69], v[2:3]
	v_add_f64 v[0:1], v[74:75], v[0:1]
	;; [unrolled: 1-line block ×3, first 2 shown]
	v_fma_f64 v[60:61], s[26:27], v[178:179], v[184:185]
	v_mul_f64 v[186:187], v[186:187], s[28:29]
	v_fmac_f64_e32 v[182:183], s[20:21], v[164:165]
	v_add_f64 v[126:127], v[180:181], v[126:127]
	v_add_f64 v[2:3], v[84:85], v[2:3]
	;; [unrolled: 1-line block ×4, first 2 shown]
	v_fma_f64 v[58:59], v[166:167], s[26:27], -v[186:187]
	v_fma_f64 v[178:179], v[178:179], s[26:27], -v[184:185]
	v_fmac_f64_e32 v[186:187], s[26:27], v[166:167]
	v_add_f64 v[128:129], v[182:183], v[126:127]
	v_add_f64 v[2:3], v[66:67], v[2:3]
	;; [unrolled: 1-line block ×5, first 2 shown]
	v_mul_lo_u32 v128, s3, v106
	v_mad_u64_u32 v[4:5], s[0:1], s2, v106, 0
	v_add_f64 v[2:3], v[62:63], v[2:3]
	v_add_f64 v[0:1], v[86:87], v[0:1]
	v_mad_u64_u32 v[62:63], s[0:1], s16, v188, 0
	v_add3_u32 v5, v5, v107, v128
	v_add_f64 v[0:1], v[78:79], v[0:1]
	v_mov_b32_e32 v64, v63
	v_add_f64 v[2:3], v[116:117], v[2:3]
	v_add_f64 v[0:1], v[96:97], v[0:1]
	v_mad_u64_u32 v[64:65], s[0:1], s17, v188, v[64:65]
	v_lshl_add_u64 v[4:5], v[4:5], 4, s[6:7]
	v_add_f64 v[2:3], v[122:123], v[2:3]
	v_add_f64 v[0:1], v[114:115], v[0:1]
	v_mov_b32_e32 v63, v64
	v_lshl_add_u64 v[4:5], v[104:105], 4, v[4:5]
	v_add_f64 v[2:3], v[132:133], v[2:3]
	v_add_f64 v[0:1], v[118:119], v[0:1]
	v_lshl_add_u64 v[62:63], v[62:63], 4, v[4:5]
	global_store_dwordx4 v[62:63], v[0:3], off
	v_add_f64 v[50:51], v[50:51], v[218:219]
	v_add_f64 v[58:59], v[58:59], v[198:199]
	v_or_b32_e32 v3, 16, v188
	v_mad_u64_u32 v[0:1], s[0:1], s16, v3, 0
	v_mov_b32_e32 v2, v1
	v_mad_u64_u32 v[2:3], s[0:1], s17, v3, v[2:3]
	v_mov_b32_e32 v1, v2
	v_lshl_add_u64 v[0:1], v[0:1], 4, v[4:5]
	v_or_b32_e32 v3, 32, v188
	global_store_dwordx4 v[0:1], v[124:127], off
	v_mad_u64_u32 v[0:1], s[0:1], s16, v3, 0
	v_mov_b32_e32 v2, v1
	v_mad_u64_u32 v[2:3], s[0:1], s17, v3, v[2:3]
	v_mov_b32_e32 v1, v2
	v_lshl_add_u64 v[0:1], v[0:1], 4, v[4:5]
	v_or_b32_e32 v3, 48, v188
	global_store_dwordx4 v[0:1], v[190:193], off
	;; [unrolled: 7-line block ×15, first 2 shown]
	v_mad_u64_u32 v[0:1], s[0:1], s16, v3, 0
	v_mov_b32_e32 v2, v1
	v_mad_u64_u32 v[2:3], s[0:1], s17, v3, v[2:3]
	v_mov_b32_e32 v1, v2
	v_lshl_add_u64 v[0:1], v[0:1], 4, v[4:5]
	global_store_dwordx4 v[0:1], v[58:61], off
.LBB0_18:
	s_endpgm
	.section	.rodata,"a",@progbits
	.p2align	6, 0x0
	.amdhsa_kernel fft_rtc_back_len272_factors_16_17_wgs_119_tpt_17_halfLds_dp_op_CI_CI_sbrr_dirReg
		.amdhsa_group_segment_fixed_size 0
		.amdhsa_private_segment_fixed_size 0
		.amdhsa_kernarg_size 104
		.amdhsa_user_sgpr_count 2
		.amdhsa_user_sgpr_dispatch_ptr 0
		.amdhsa_user_sgpr_queue_ptr 0
		.amdhsa_user_sgpr_kernarg_segment_ptr 1
		.amdhsa_user_sgpr_dispatch_id 0
		.amdhsa_user_sgpr_kernarg_preload_length 0
		.amdhsa_user_sgpr_kernarg_preload_offset 0
		.amdhsa_user_sgpr_private_segment_size 0
		.amdhsa_uses_dynamic_stack 0
		.amdhsa_enable_private_segment 0
		.amdhsa_system_sgpr_workgroup_id_x 1
		.amdhsa_system_sgpr_workgroup_id_y 0
		.amdhsa_system_sgpr_workgroup_id_z 0
		.amdhsa_system_sgpr_workgroup_info 0
		.amdhsa_system_vgpr_workitem_id 0
		.amdhsa_next_free_vgpr 224
		.amdhsa_next_free_sgpr 54
		.amdhsa_accum_offset 224
		.amdhsa_reserve_vcc 1
		.amdhsa_float_round_mode_32 0
		.amdhsa_float_round_mode_16_64 0
		.amdhsa_float_denorm_mode_32 3
		.amdhsa_float_denorm_mode_16_64 3
		.amdhsa_dx10_clamp 1
		.amdhsa_ieee_mode 1
		.amdhsa_fp16_overflow 0
		.amdhsa_tg_split 0
		.amdhsa_exception_fp_ieee_invalid_op 0
		.amdhsa_exception_fp_denorm_src 0
		.amdhsa_exception_fp_ieee_div_zero 0
		.amdhsa_exception_fp_ieee_overflow 0
		.amdhsa_exception_fp_ieee_underflow 0
		.amdhsa_exception_fp_ieee_inexact 0
		.amdhsa_exception_int_div_zero 0
	.end_amdhsa_kernel
	.text
.Lfunc_end0:
	.size	fft_rtc_back_len272_factors_16_17_wgs_119_tpt_17_halfLds_dp_op_CI_CI_sbrr_dirReg, .Lfunc_end0-fft_rtc_back_len272_factors_16_17_wgs_119_tpt_17_halfLds_dp_op_CI_CI_sbrr_dirReg
                                        ; -- End function
	.section	.AMDGPU.csdata,"",@progbits
; Kernel info:
; codeLenInByte = 11228
; NumSgprs: 60
; NumVgprs: 224
; NumAgprs: 0
; TotalNumVgprs: 224
; ScratchSize: 0
; MemoryBound: 1
; FloatMode: 240
; IeeeMode: 1
; LDSByteSize: 0 bytes/workgroup (compile time only)
; SGPRBlocks: 7
; VGPRBlocks: 27
; NumSGPRsForWavesPerEU: 60
; NumVGPRsForWavesPerEU: 224
; AccumOffset: 224
; Occupancy: 2
; WaveLimiterHint : 1
; COMPUTE_PGM_RSRC2:SCRATCH_EN: 0
; COMPUTE_PGM_RSRC2:USER_SGPR: 2
; COMPUTE_PGM_RSRC2:TRAP_HANDLER: 0
; COMPUTE_PGM_RSRC2:TGID_X_EN: 1
; COMPUTE_PGM_RSRC2:TGID_Y_EN: 0
; COMPUTE_PGM_RSRC2:TGID_Z_EN: 0
; COMPUTE_PGM_RSRC2:TIDIG_COMP_CNT: 0
; COMPUTE_PGM_RSRC3_GFX90A:ACCUM_OFFSET: 55
; COMPUTE_PGM_RSRC3_GFX90A:TG_SPLIT: 0
	.text
	.p2alignl 6, 3212836864
	.fill 256, 4, 3212836864
	.type	__hip_cuid_f04e06c42fb58ca4,@object ; @__hip_cuid_f04e06c42fb58ca4
	.section	.bss,"aw",@nobits
	.globl	__hip_cuid_f04e06c42fb58ca4
__hip_cuid_f04e06c42fb58ca4:
	.byte	0                               ; 0x0
	.size	__hip_cuid_f04e06c42fb58ca4, 1

	.ident	"AMD clang version 19.0.0git (https://github.com/RadeonOpenCompute/llvm-project roc-6.4.0 25133 c7fe45cf4b819c5991fe208aaa96edf142730f1d)"
	.section	".note.GNU-stack","",@progbits
	.addrsig
	.addrsig_sym __hip_cuid_f04e06c42fb58ca4
	.amdgpu_metadata
---
amdhsa.kernels:
  - .agpr_count:     0
    .args:
      - .actual_access:  read_only
        .address_space:  global
        .offset:         0
        .size:           8
        .value_kind:     global_buffer
      - .offset:         8
        .size:           8
        .value_kind:     by_value
      - .actual_access:  read_only
        .address_space:  global
        .offset:         16
        .size:           8
        .value_kind:     global_buffer
      - .actual_access:  read_only
        .address_space:  global
        .offset:         24
        .size:           8
        .value_kind:     global_buffer
      - .actual_access:  read_only
        .address_space:  global
        .offset:         32
        .size:           8
        .value_kind:     global_buffer
      - .offset:         40
        .size:           8
        .value_kind:     by_value
      - .actual_access:  read_only
        .address_space:  global
        .offset:         48
        .size:           8
        .value_kind:     global_buffer
      - .actual_access:  read_only
        .address_space:  global
        .offset:         56
        .size:           8
        .value_kind:     global_buffer
      - .offset:         64
        .size:           4
        .value_kind:     by_value
      - .actual_access:  read_only
        .address_space:  global
        .offset:         72
        .size:           8
        .value_kind:     global_buffer
      - .actual_access:  read_only
        .address_space:  global
        .offset:         80
        .size:           8
        .value_kind:     global_buffer
      - .actual_access:  read_only
        .address_space:  global
        .offset:         88
        .size:           8
        .value_kind:     global_buffer
      - .actual_access:  write_only
        .address_space:  global
        .offset:         96
        .size:           8
        .value_kind:     global_buffer
    .group_segment_fixed_size: 0
    .kernarg_segment_align: 8
    .kernarg_segment_size: 104
    .language:       OpenCL C
    .language_version:
      - 2
      - 0
    .max_flat_workgroup_size: 119
    .name:           fft_rtc_back_len272_factors_16_17_wgs_119_tpt_17_halfLds_dp_op_CI_CI_sbrr_dirReg
    .private_segment_fixed_size: 0
    .sgpr_count:     60
    .sgpr_spill_count: 0
    .symbol:         fft_rtc_back_len272_factors_16_17_wgs_119_tpt_17_halfLds_dp_op_CI_CI_sbrr_dirReg.kd
    .uniform_work_group_size: 1
    .uses_dynamic_stack: false
    .vgpr_count:     224
    .vgpr_spill_count: 0
    .wavefront_size: 64
amdhsa.target:   amdgcn-amd-amdhsa--gfx950
amdhsa.version:
  - 1
  - 2
...

	.end_amdgpu_metadata
